;; amdgpu-corpus repo=ROCm/rocm-examples kind=compiled arch=gfx1250 opt=O3
	.amdgcn_target "amdgcn-amd-amdhsa--gfx1250"
	.amdhsa_code_object_version 6
	.text
	.protected	_Z10computeDFTPKfP15HIP_vector_typeIfLj2EEi ; -- Begin function _Z10computeDFTPKfP15HIP_vector_typeIfLj2EEi
	.globl	_Z10computeDFTPKfP15HIP_vector_typeIfLj2EEi
	.p2align	8
	.type	_Z10computeDFTPKfP15HIP_vector_typeIfLj2EEi,@function
_Z10computeDFTPKfP15HIP_vector_typeIfLj2EEi: ; @_Z10computeDFTPKfP15HIP_vector_typeIfLj2EEi
; %bb.0:
	s_clause 0x1
	s_load_b32 s2, s[0:1], 0x24
	s_load_b32 s8, s[0:1], 0x10
	s_bfe_u32 s3, ttmp6, 0x4000c
	s_and_b32 s4, ttmp6, 15
	s_add_co_i32 s3, s3, 1
	s_getreg_b32 s5, hwreg(HW_REG_IB_STS2, 6, 4)
	s_mul_i32 s3, ttmp9, s3
	s_delay_alu instid0(SALU_CYCLE_1) | instskip(SKIP_4) | instid1(SALU_CYCLE_1)
	s_add_co_i32 s4, s4, s3
	s_wait_kmcnt 0x0
	s_and_b32 s2, s2, 0xffff
	s_cmp_eq_u32 s5, 0
	s_cselect_b32 s3, ttmp9, s4
	v_mad_u32 v10, s3, s2, v0
	s_mov_b32 s2, exec_lo
	s_delay_alu instid0(VALU_DEP_1)
	v_cmpx_gt_i32_e64 s8, v10
	s_cbranch_execz .LBB0_14
; %bb.1:
	s_load_b128 s[4:7], s[0:1], 0x0
	s_cmp_lt_i32 s8, 1
	s_cbranch_scc1 .LBB0_12
; %bb.2:
	v_cvt_f64_i32_e32 v[0:1], v10
	v_cvt_f64_u32_e32 v[4:5], s8
	v_mov_b32_e32 v7, 0
	v_mov_b64_e32 v[8:9], 0
	s_mov_b64 s[2:3], 0xfe5163ab
	s_mov_b32 s9, 0x7fffff
	s_mov_b32 s10, 0xb94c1982
	;; [unrolled: 1-line block ×3, first 2 shown]
	s_delay_alu instid0(VALU_DEP_4)
	v_mul_f64_e32 v[2:3], 0xc01921fb54442d18, v[0:1]
	v_dual_mov_b32 v0, v7 :: v_dual_mov_b32 v1, v7
	s_branch .LBB0_4
.LBB0_3:                                ;   in Loop: Header=BB0_4 Depth=1
	s_or_b32 exec_lo, exec_lo, s0
	v_dual_mul_f32 v6, v13, v13 :: v_dual_bitop2_b32 v15, 1, v14 bitop3:0x40
	s_wait_kmcnt 0x0
	s_load_b32 s0, s[4:5], 0x0
	v_dual_mul_f32 v18, v16, v16 :: v_dual_lshlrev_b32 v14, 30, v14
	s_delay_alu instid0(VALU_DEP_2) | instskip(SKIP_2) | instid1(VALU_DEP_4)
	v_fmaak_f32 v19, s10, v6, 0x3c0881c4
	v_fmaak_f32 v20, s11, v6, 0xbab64f3b
	v_cmp_eq_u32_e32 vcc_lo, 0, v15
	v_fmaak_f32 v23, s11, v18, 0xbab64f3b
	s_add_co_i32 s8, s8, -1
	v_fmaak_f32 v19, v6, v19, 0xbe2aaa9d
	v_dual_lshlrev_b32 v17, 30, v17 :: v_dual_bitop2_b32 v21, 1, v17 bitop3:0x40
	v_fmaak_f32 v20, v6, v20, 0x3d2aabf7
	s_cmp_eq_u32 s8, 0
	s_delay_alu instid0(VALU_DEP_3) | instskip(SKIP_2) | instid1(VALU_DEP_1)
	v_dual_mul_f32 v19, v6, v19 :: v_dual_fmaak_f32 v22, s10, v18, 0x3c0881c4
	s_wait_xcnt 0x0
	s_add_nc_u64 s[4:5], s[4:5], 4
	v_dual_fmaak_f32 v20, v6, v20, 0xbf000004 :: v_dual_fmac_f32 v13, v13, v19
	s_delay_alu instid0(VALU_DEP_1) | instskip(NEXT) | instid1(VALU_DEP_1)
	v_fma_f32 v6, v6, v20, 1.0
	v_dual_cndmask_b32 v6, -v13, v6, vcc_lo :: v_dual_bitop2_b32 v12, v12, v11 bitop3:0x14
	v_cmp_eq_u32_e32 vcc_lo, 0, v21
	v_fmaak_f32 v22, v18, v22, 0xbe2aaa9d
	v_fmaak_f32 v23, v18, v23, 0x3d2aabf7
	v_and_b32_e32 v13, 0x80000000, v17
	v_bitop3_b32 v14, v14, v6, 0x80000000 bitop3:0x6c
	s_wait_kmcnt 0x0
	v_dual_mov_b32 v6, s0 :: v_dual_mul_f32 v22, v18, v22
	v_fmaak_f32 v23, v18, v23, 0xbf000004
	s_delay_alu instid0(VALU_DEP_2) | instskip(NEXT) | instid1(VALU_DEP_2)
	v_dual_mov_b32 v17, s0 :: v_dual_fmac_f32 v16, v16, v22
	v_fma_f32 v18, v18, v23, 1.0
	s_delay_alu instid0(VALU_DEP_1) | instskip(SKIP_1) | instid1(VALU_DEP_2)
	v_cndmask_b32_e32 v15, v18, v16, vcc_lo
	v_cmp_class_f32_e64 vcc_lo, v11, 0x1f8
	v_xor3_b32 v11, v12, v13, v15
	v_cndmask_b32_e32 v12, 0x7fc00000, v14, vcc_lo
	s_delay_alu instid0(VALU_DEP_2) | instskip(NEXT) | instid1(VALU_DEP_2)
	v_dual_mov_b32 v14, v7 :: v_dual_cndmask_b32 v13, 0x7fc00000, v11
	v_dual_mul_f32 v18, 0, v12 :: v_dual_mov_b32 v16, v12
	s_delay_alu instid0(VALU_DEP_2) | instskip(NEXT) | instid1(VALU_DEP_1)
	v_dual_mov_b32 v15, v13 :: v_dual_mul_f32 v20, 0, v13
	v_pk_fma_f32 v[14:15], v[16:17], v[14:15], v[18:19] op_sel_hi:[1,1,0]
	v_add_f64_e32 v[8:9], 1.0, v[8:9]
	s_delay_alu instid0(VALU_DEP_3) | instskip(NEXT) | instid1(VALU_DEP_3)
	v_pk_fma_f32 v[12:13], v[12:13], v[6:7], v[20:21] op_sel_hi:[1,1,0] neg_lo:[0,0,1] neg_hi:[0,0,1]
	v_mov_b32_e32 v13, v15
	s_delay_alu instid0(VALU_DEP_1)
	v_pk_add_f32 v[0:1], v[12:13], v[0:1]
	s_cbranch_scc1 .LBB0_13
.LBB0_4:                                ; =>This Inner Loop Header: Depth=1
	s_delay_alu instid0(VALU_DEP_2) | instskip(NEXT) | instid1(VALU_DEP_1)
	v_mul_f64_e32 v[12:13], v[2:3], v[8:9]
	v_div_scale_f64 v[14:15], null, v[4:5], v[4:5], v[12:13]
	v_div_scale_f64 v[20:21], vcc_lo, v[12:13], v[4:5], v[12:13]
	s_delay_alu instid0(VALU_DEP_2) | instskip(SKIP_1) | instid1(TRANS32_DEP_1)
	v_rcp_f64_e32 v[16:17], v[14:15]
	v_nop
	v_fma_f64 v[18:19], -v[14:15], v[16:17], 1.0
	s_delay_alu instid0(VALU_DEP_1) | instskip(NEXT) | instid1(VALU_DEP_1)
	v_fmac_f64_e32 v[16:17], v[16:17], v[18:19]
	v_fma_f64 v[18:19], -v[14:15], v[16:17], 1.0
	s_delay_alu instid0(VALU_DEP_1) | instskip(NEXT) | instid1(VALU_DEP_1)
	v_fmac_f64_e32 v[16:17], v[16:17], v[18:19]
	v_mul_f64_e32 v[18:19], v[20:21], v[16:17]
	s_delay_alu instid0(VALU_DEP_1) | instskip(NEXT) | instid1(VALU_DEP_1)
	v_fma_f64 v[14:15], -v[14:15], v[18:19], v[20:21]
	v_div_fmas_f64 v[14:15], v[14:15], v[16:17], v[18:19]
	s_delay_alu instid0(VALU_DEP_1) | instskip(NEXT) | instid1(VALU_DEP_1)
	v_div_fixup_f64 v[12:13], v[14:15], v[4:5], v[12:13]
                                        ; implicit-def: $vgpr14
	v_cvt_f32_f64_e32 v11, v[12:13]
                                        ; implicit-def: $vgpr13
	s_delay_alu instid0(VALU_DEP_1) | instskip(SKIP_1) | instid1(VALU_DEP_2)
	v_and_b32_e32 v12, 0x7fffffff, v11
	v_cmp_ngt_f32_e64 s12, 0x48000000, |v11|
	v_lshrrev_b32_e32 v15, 23, v12
	v_and_or_b32 v6, v12, s9, 0x800000
	s_wait_xcnt 0x0
	s_and_saveexec_b32 s0, s12
	s_delay_alu instid0(SALU_CYCLE_1)
	s_xor_b32 s13, exec_lo, s0
	s_cbranch_execz .LBB0_6
; %bb.5:                                ;   in Loop: Header=BB0_4 Depth=1
	v_mul_u64_e32 v[16:17], s[2:3], v[6:7]
	v_dual_mov_b32 v19, v7 :: v_dual_mov_b32 v29, v7
	s_delay_alu instid0(VALU_DEP_2) | instskip(NEXT) | instid1(VALU_DEP_1)
	v_mov_b32_e32 v18, v17
	v_mad_nc_u64_u32 v[18:19], 0x3c439041, v6, v[18:19]
	s_delay_alu instid0(VALU_DEP_1) | instskip(NEXT) | instid1(VALU_DEP_1)
	v_dual_mov_b32 v21, v7 :: v_dual_mov_b32 v20, v19
	v_mad_nc_u64_u32 v[20:21], 0xdb629599, v6, v[20:21]
	s_delay_alu instid0(VALU_DEP_1) | instskip(NEXT) | instid1(VALU_DEP_1)
	v_dual_mov_b32 v23, v7 :: v_dual_mov_b32 v22, v21
	;; [unrolled: 3-line block ×4, first 2 shown]
	v_mad_nc_u64_u32 v[26:27], 0x4e441529, v6, v[26:27]
	s_delay_alu instid0(VALU_DEP_1) | instskip(NEXT) | instid1(VALU_DEP_1)
	v_dual_mov_b32 v28, v27 :: v_dual_add_nc_u32 v13, 0xffffff88, v15
	v_cmp_lt_u32_e32 vcc_lo, 63, v13
	s_delay_alu instid0(VALU_DEP_2) | instskip(SKIP_2) | instid1(VALU_DEP_2)
	v_mad_nc_u64_u32 v[28:29], 0xa2f9836e, v6, v[28:29]
	v_cndmask_b32_e64 v14, 0, 0xffffffc0, vcc_lo
	v_dual_cndmask_b32 v17, v26, v22, vcc_lo :: v_dual_cndmask_b32 v23, v24, v20, vcc_lo
	v_dual_cndmask_b32 v16, v20, v16 :: v_dual_add_nc_u32 v13, v14, v13
	s_delay_alu instid0(VALU_DEP_1) | instskip(SKIP_1) | instid1(VALU_DEP_2)
	v_cmp_lt_u32_e64 s0, 31, v13
	v_cndmask_b32_e32 v19, v28, v24, vcc_lo
	v_cndmask_b32_e64 v14, 0, 0xffffffe0, s0
	s_delay_alu instid0(VALU_DEP_1) | instskip(NEXT) | instid1(VALU_DEP_1)
	v_add_nc_u32_e32 v13, v14, v13
	v_cmp_lt_u32_e64 s1, 31, v13
	s_delay_alu instid0(VALU_DEP_1) | instskip(NEXT) | instid1(VALU_DEP_1)
	v_cndmask_b32_e64 v14, 0, 0xffffffe0, s1
	v_dual_cndmask_b32 v21, v29, v26, vcc_lo :: v_dual_add_nc_u32 v13, v14, v13
	v_dual_cndmask_b32 v14, v22, v18, vcc_lo :: v_dual_cndmask_b32 v18, v19, v17, s0
	s_delay_alu instid0(VALU_DEP_2) | instskip(NEXT) | instid1(VALU_DEP_3)
	v_cndmask_b32_e64 v19, v21, v19, s0
	v_dual_cndmask_b32 v17, v17, v23, s0 :: v_dual_sub_nc_u32 v21, 32, v13
	s_delay_alu instid0(VALU_DEP_3) | instskip(SKIP_1) | instid1(VALU_DEP_3)
	v_cndmask_b32_e64 v22, v23, v14, s0
	v_cmp_eq_u32_e32 vcc_lo, 0, v13
	v_dual_cndmask_b32 v19, v19, v18, s1 :: v_dual_cndmask_b32 v18, v18, v17, s1
	s_delay_alu instid0(VALU_DEP_3) | instskip(NEXT) | instid1(VALU_DEP_2)
	v_dual_cndmask_b32 v14, v14, v16, s0 :: v_dual_cndmask_b32 v17, v17, v22, s1
	v_alignbit_b32 v23, v19, v18, v21
	s_delay_alu instid0(VALU_DEP_2) | instskip(NEXT) | instid1(VALU_DEP_1)
	v_alignbit_b32 v20, v18, v17, v21
	v_dual_cndmask_b32 v13, v23, v19 :: v_dual_cndmask_b32 v16, v20, v18
	s_delay_alu instid0(VALU_DEP_1) | instskip(NEXT) | instid1(VALU_DEP_1)
	v_bfe_u32 v18, v13, 29, 1
	v_sub_nc_u32_e32 v20, 0, v18
	s_delay_alu instid0(VALU_DEP_3) | instskip(NEXT) | instid1(VALU_DEP_1)
	v_alignbit_b32 v19, v13, v16, 30
	v_dual_cndmask_b32 v14, v22, v14, s1 :: v_dual_bitop2_b32 v19, v19, v20 bitop3:0x14
	s_delay_alu instid0(VALU_DEP_1) | instskip(NEXT) | instid1(VALU_DEP_1)
	v_alignbit_b32 v21, v17, v14, v21
	v_cndmask_b32_e32 v17, v21, v17, vcc_lo
	s_delay_alu instid0(VALU_DEP_3) | instskip(NEXT) | instid1(VALU_DEP_2)
	v_clz_i32_u32_e32 v21, v19
	v_alignbit_b32 v16, v16, v17, 30
	s_delay_alu instid0(VALU_DEP_2) | instskip(NEXT) | instid1(VALU_DEP_2)
	v_min_u32_e32 v21, 32, v21
	v_xor_b32_e32 v16, v16, v20
	v_alignbit_b32 v14, v17, v14, 30
	s_delay_alu instid0(VALU_DEP_3) | instskip(NEXT) | instid1(VALU_DEP_2)
	v_dual_sub_nc_u32 v17, 31, v21 :: v_dual_lshlrev_b32 v22, 23, v21
	v_xor_b32_e32 v14, v14, v20
	s_delay_alu instid0(VALU_DEP_2) | instskip(SKIP_1) | instid1(VALU_DEP_3)
	v_alignbit_b32 v19, v19, v16, v17
	v_lshrrev_b32_e32 v20, 29, v13
	v_alignbit_b32 v14, v16, v14, v17
	s_delay_alu instid0(VALU_DEP_1) | instskip(NEXT) | instid1(VALU_DEP_3)
	v_alignbit_b32 v17, v19, v14, 9
	v_dual_lshrrev_b32 v19, 9, v19 :: v_dual_lshlrev_b32 v16, 31, v20
	s_delay_alu instid0(VALU_DEP_2) | instskip(NEXT) | instid1(VALU_DEP_2)
	v_clz_i32_u32_e32 v23, v17
	v_or_b32_e32 v20, 0.5, v16
	v_or_b32_e32 v16, 0x33000000, v16
	s_delay_alu instid0(VALU_DEP_2) | instskip(NEXT) | instid1(VALU_DEP_4)
	v_sub_nc_u32_e32 v20, v20, v22
	v_min_u32_e32 v22, 32, v23
	s_delay_alu instid0(VALU_DEP_2) | instskip(NEXT) | instid1(VALU_DEP_2)
	v_or_b32_e32 v19, v19, v20
	v_not_b32_e32 v20, v22
	v_add_lshl_u32 v21, v22, v21, 23
	s_delay_alu instid0(VALU_DEP_2) | instskip(NEXT) | instid1(VALU_DEP_1)
	v_alignbit_b32 v14, v17, v14, v20
	v_dual_sub_nc_u32 v16, v16, v21 :: v_dual_lshrrev_b32 v14, 9, v14
	v_mul_f32_e32 v23, 0x3fc90fda, v19
	s_delay_alu instid0(VALU_DEP_2) | instskip(NEXT) | instid1(VALU_DEP_2)
	v_or_b32_e32 v14, v16, v14
	v_fma_f32 v17, 0x3fc90fda, v19, -v23
	s_delay_alu instid0(VALU_DEP_1) | instskip(NEXT) | instid1(VALU_DEP_1)
	v_fmac_f32_e32 v17, 0x33a22168, v19
	v_dual_fmac_f32 v17, 0x3fc90fda, v14 :: v_dual_lshrrev_b32 v14, 30, v13
	s_delay_alu instid0(VALU_DEP_1)
	v_dual_add_f32 v13, v23, v17 :: v_dual_add_nc_u32 v14, v18, v14
	s_or_saveexec_b32 s0, s13
	v_mul_f32_e64 v18, 0x3f22f983, |v11|
	s_xor_b32 exec_lo, exec_lo, s0
	s_branch .LBB0_7
.LBB0_6:                                ;   in Loop: Header=BB0_4 Depth=1
	s_or_saveexec_b32 s0, s13
	v_mul_f32_e64 v18, 0x3f22f983, |v11|
	s_xor_b32 exec_lo, exec_lo, s0
.LBB0_7:                                ;   in Loop: Header=BB0_4 Depth=1
	s_delay_alu instid0(VALU_DEP_1) | instskip(NEXT) | instid1(VALU_DEP_1)
	v_rndne_f32_e32 v14, v18
	v_fma_f32 v13, 0xbfc90fda, v14, |v11|
	s_delay_alu instid0(VALU_DEP_1) | instskip(NEXT) | instid1(VALU_DEP_1)
	v_fmac_f32_e32 v13, 0xb3a22168, v14
	v_fmac_f32_e32 v13, 0xa7c234c4, v14
	v_cvt_i32_f32_e32 v14, v14
; %bb.8:                                ;   in Loop: Header=BB0_4 Depth=1
	s_or_b32 exec_lo, exec_lo, s0
                                        ; implicit-def: $vgpr17
                                        ; implicit-def: $vgpr16
	s_and_saveexec_b32 s0, s12
	s_delay_alu instid0(SALU_CYCLE_1)
	s_xor_b32 s12, exec_lo, s0
	s_cbranch_execz .LBB0_10
; %bb.9:                                ;   in Loop: Header=BB0_4 Depth=1
	v_mul_u64_e32 v[16:17], s[2:3], v[6:7]
	v_dual_mov_b32 v19, v7 :: v_dual_mov_b32 v29, v7
	s_delay_alu instid0(VALU_DEP_2) | instskip(NEXT) | instid1(VALU_DEP_1)
	v_mov_b32_e32 v18, v17
	v_mad_nc_u64_u32 v[18:19], 0x3c439041, v6, v[18:19]
	s_delay_alu instid0(VALU_DEP_1) | instskip(NEXT) | instid1(VALU_DEP_1)
	v_dual_mov_b32 v21, v7 :: v_dual_mov_b32 v20, v19
	v_mad_nc_u64_u32 v[20:21], 0xdb629599, v6, v[20:21]
	s_delay_alu instid0(VALU_DEP_1) | instskip(NEXT) | instid1(VALU_DEP_1)
	v_dual_mov_b32 v23, v7 :: v_dual_mov_b32 v22, v21
	;; [unrolled: 3-line block ×4, first 2 shown]
	v_mad_nc_u64_u32 v[26:27], 0x4e441529, v6, v[26:27]
	s_delay_alu instid0(VALU_DEP_1) | instskip(NEXT) | instid1(VALU_DEP_1)
	v_dual_mov_b32 v28, v27 :: v_dual_add_nc_u32 v15, 0xffffff88, v15
	v_cmp_lt_u32_e32 vcc_lo, 63, v15
	s_delay_alu instid0(VALU_DEP_2) | instskip(SKIP_1) | instid1(VALU_DEP_1)
	v_mad_nc_u64_u32 v[28:29], 0xa2f9836e, v6, v[28:29]
	v_cndmask_b32_e64 v17, 0, 0xffffffc0, vcc_lo
	v_dual_cndmask_b32 v16, v20, v16 :: v_dual_add_nc_u32 v15, v17, v15
	s_delay_alu instid0(VALU_DEP_1) | instskip(NEXT) | instid1(VALU_DEP_4)
	v_cmp_lt_u32_e64 s0, 31, v15
	v_dual_cndmask_b32 v19, v28, v24, vcc_lo :: v_dual_cndmask_b32 v21, v29, v26, vcc_lo
	s_delay_alu instid0(VALU_DEP_2) | instskip(NEXT) | instid1(VALU_DEP_1)
	v_cndmask_b32_e64 v17, 0, 0xffffffe0, s0
	v_dual_cndmask_b32 v17, v26, v22 :: v_dual_add_nc_u32 v6, v17, v15
	s_delay_alu instid0(VALU_DEP_1) | instskip(NEXT) | instid1(VALU_DEP_1)
	v_cmp_lt_u32_e64 s1, 31, v6
	v_cndmask_b32_e64 v15, 0, 0xffffffe0, s1
	s_delay_alu instid0(VALU_DEP_1) | instskip(NEXT) | instid1(VALU_DEP_4)
	v_dual_cndmask_b32 v23, v24, v20 :: v_dual_add_nc_u32 v6, v15, v6
	v_dual_cndmask_b32 v15, v22, v18, vcc_lo :: v_dual_cndmask_b32 v18, v19, v17, s0
	s_delay_alu instid0(VALU_DEP_2) | instskip(NEXT) | instid1(VALU_DEP_3)
	v_dual_cndmask_b32 v19, v21, v19, s0 :: v_dual_sub_nc_u32 v21, 32, v6
	v_cndmask_b32_e64 v17, v17, v23, s0
	s_delay_alu instid0(VALU_DEP_3) | instskip(NEXT) | instid1(VALU_DEP_3)
	v_cndmask_b32_e64 v22, v23, v15, s0
	v_cndmask_b32_e64 v19, v19, v18, s1
	v_cmp_eq_u32_e32 vcc_lo, 0, v6
	s_delay_alu instid0(VALU_DEP_4) | instskip(NEXT) | instid1(VALU_DEP_4)
	v_dual_cndmask_b32 v15, v15, v16, s0 :: v_dual_cndmask_b32 v18, v18, v17, s1
	v_cndmask_b32_e64 v17, v17, v22, s1
	s_delay_alu instid0(VALU_DEP_2) | instskip(NEXT) | instid1(VALU_DEP_2)
	v_alignbit_b32 v23, v19, v18, v21
	v_alignbit_b32 v20, v18, v17, v21
	s_delay_alu instid0(VALU_DEP_1) | instskip(NEXT) | instid1(VALU_DEP_1)
	v_dual_cndmask_b32 v6, v23, v19, vcc_lo :: v_dual_cndmask_b32 v16, v20, v18, vcc_lo
	v_bfe_u32 v18, v6, 29, 1
	s_delay_alu instid0(VALU_DEP_2) | instskip(NEXT) | instid1(VALU_DEP_2)
	v_alignbit_b32 v19, v6, v16, 30
	v_dual_sub_nc_u32 v20, 0, v18 :: v_dual_cndmask_b32 v15, v22, v15, s1
	s_delay_alu instid0(VALU_DEP_1) | instskip(NEXT) | instid1(VALU_DEP_2)
	v_xor_b32_e32 v19, v19, v20
	v_alignbit_b32 v21, v17, v15, v21
	s_delay_alu instid0(VALU_DEP_1) | instskip(NEXT) | instid1(VALU_DEP_3)
	v_cndmask_b32_e32 v17, v21, v17, vcc_lo
	v_clz_i32_u32_e32 v21, v19
	s_delay_alu instid0(VALU_DEP_2) | instskip(NEXT) | instid1(VALU_DEP_2)
	v_alignbit_b32 v16, v16, v17, 30
	v_min_u32_e32 v21, 32, v21
	s_delay_alu instid0(VALU_DEP_2) | instskip(SKIP_1) | instid1(VALU_DEP_3)
	v_xor_b32_e32 v16, v16, v20
	v_alignbit_b32 v15, v17, v15, 30
	v_dual_sub_nc_u32 v17, 31, v21 :: v_dual_lshlrev_b32 v22, 23, v21
	s_delay_alu instid0(VALU_DEP_2) | instskip(NEXT) | instid1(VALU_DEP_2)
	v_dual_lshrrev_b32 v20, 29, v6 :: v_dual_bitop2_b32 v15, v15, v20 bitop3:0x14
	v_alignbit_b32 v19, v19, v16, v17
	v_lshrrev_b32_e32 v6, 30, v6
	s_delay_alu instid0(VALU_DEP_3) | instskip(NEXT) | instid1(VALU_DEP_4)
	v_alignbit_b32 v15, v16, v15, v17
	v_lshlrev_b32_e32 v16, 31, v20
	s_delay_alu instid0(VALU_DEP_2) | instskip(NEXT) | instid1(VALU_DEP_2)
	v_alignbit_b32 v17, v19, v15, 9
	v_dual_lshrrev_b32 v19, 9, v19 :: v_dual_bitop2_b32 v20, 0.5, v16 bitop3:0x54
	s_delay_alu instid0(VALU_DEP_2) | instskip(NEXT) | instid1(VALU_DEP_2)
	v_clz_i32_u32_e32 v23, v17
	v_sub_nc_u32_e32 v20, v20, v22
	v_or_b32_e32 v16, 0x33000000, v16
	s_delay_alu instid0(VALU_DEP_3) | instskip(NEXT) | instid1(VALU_DEP_1)
	v_min_u32_e32 v22, 32, v23
	v_add_lshl_u32 v21, v22, v21, 23
	s_delay_alu instid0(VALU_DEP_4) | instskip(SKIP_1) | instid1(VALU_DEP_2)
	v_or_b32_e32 v19, v19, v20
	v_not_b32_e32 v20, v22
	v_dual_mul_f32 v23, 0x3fc90fda, v19 :: v_dual_sub_nc_u32 v16, v16, v21
	s_delay_alu instid0(VALU_DEP_2) | instskip(NEXT) | instid1(VALU_DEP_2)
	v_alignbit_b32 v15, v17, v15, v20
	v_fma_f32 v17, 0x3fc90fda, v19, -v23
	s_delay_alu instid0(VALU_DEP_2) | instskip(NEXT) | instid1(VALU_DEP_2)
	v_lshrrev_b32_e32 v15, 9, v15
	v_fmac_f32_e32 v17, 0x33a22168, v19
	s_delay_alu instid0(VALU_DEP_2) | instskip(NEXT) | instid1(VALU_DEP_1)
	v_or_b32_e32 v15, v16, v15
	v_fmac_f32_e32 v17, 0x3fc90fda, v15
	s_delay_alu instid0(VALU_DEP_1)
	v_dual_add_f32 v16, v23, v17 :: v_dual_add_nc_u32 v17, v18, v6
                                        ; implicit-def: $vgpr18
	s_and_not1_saveexec_b32 s0, s12
	s_cbranch_execz .LBB0_3
	s_branch .LBB0_11
.LBB0_10:                               ;   in Loop: Header=BB0_4 Depth=1
	s_and_not1_saveexec_b32 s0, s12
	s_cbranch_execz .LBB0_3
.LBB0_11:                               ;   in Loop: Header=BB0_4 Depth=1
	v_rndne_f32_e32 v6, v18
	s_delay_alu instid0(VALU_DEP_1) | instskip(SKIP_1) | instid1(VALU_DEP_2)
	v_fma_f32 v16, 0xbfc90fda, v6, |v11|
	v_cvt_i32_f32_e32 v17, v6
	v_fmac_f32_e32 v16, 0xb3a22168, v6
	s_delay_alu instid0(VALU_DEP_1)
	v_fmac_f32_e32 v16, 0xa7c234c4, v6
	s_branch .LBB0_3
.LBB0_12:
	v_mov_b32_e32 v0, 0
	s_delay_alu instid0(VALU_DEP_1)
	v_mov_b32_e32 v1, v0
.LBB0_13:
	s_wait_kmcnt 0x0
	global_store_b64 v10, v[0:1], s[6:7] scale_offset
.LBB0_14:
	s_endpgm
	.section	.rodata,"a",@progbits
	.p2align	6, 0x0
	.amdhsa_kernel _Z10computeDFTPKfP15HIP_vector_typeIfLj2EEi
		.amdhsa_group_segment_fixed_size 0
		.amdhsa_private_segment_fixed_size 0
		.amdhsa_kernarg_size 280
		.amdhsa_user_sgpr_count 2
		.amdhsa_user_sgpr_dispatch_ptr 0
		.amdhsa_user_sgpr_queue_ptr 0
		.amdhsa_user_sgpr_kernarg_segment_ptr 1
		.amdhsa_user_sgpr_dispatch_id 0
		.amdhsa_user_sgpr_kernarg_preload_length 0
		.amdhsa_user_sgpr_kernarg_preload_offset 0
		.amdhsa_user_sgpr_private_segment_size 0
		.amdhsa_wavefront_size32 1
		.amdhsa_uses_dynamic_stack 0
		.amdhsa_enable_private_segment 0
		.amdhsa_system_sgpr_workgroup_id_x 1
		.amdhsa_system_sgpr_workgroup_id_y 0
		.amdhsa_system_sgpr_workgroup_id_z 0
		.amdhsa_system_sgpr_workgroup_info 0
		.amdhsa_system_vgpr_workitem_id 0
		.amdhsa_next_free_vgpr 30
		.amdhsa_next_free_sgpr 14
		.amdhsa_named_barrier_count 0
		.amdhsa_reserve_vcc 1
		.amdhsa_float_round_mode_32 0
		.amdhsa_float_round_mode_16_64 0
		.amdhsa_float_denorm_mode_32 3
		.amdhsa_float_denorm_mode_16_64 3
		.amdhsa_fp16_overflow 0
		.amdhsa_memory_ordered 1
		.amdhsa_forward_progress 1
		.amdhsa_inst_pref_size 19
		.amdhsa_round_robin_scheduling 0
		.amdhsa_exception_fp_ieee_invalid_op 0
		.amdhsa_exception_fp_denorm_src 0
		.amdhsa_exception_fp_ieee_div_zero 0
		.amdhsa_exception_fp_ieee_overflow 0
		.amdhsa_exception_fp_ieee_underflow 0
		.amdhsa_exception_fp_ieee_inexact 0
		.amdhsa_exception_int_div_zero 0
	.end_amdhsa_kernel
	.text
.Lfunc_end0:
	.size	_Z10computeDFTPKfP15HIP_vector_typeIfLj2EEi, .Lfunc_end0-_Z10computeDFTPKfP15HIP_vector_typeIfLj2EEi
                                        ; -- End function
	.set _Z10computeDFTPKfP15HIP_vector_typeIfLj2EEi.num_vgpr, 30
	.set _Z10computeDFTPKfP15HIP_vector_typeIfLj2EEi.num_agpr, 0
	.set _Z10computeDFTPKfP15HIP_vector_typeIfLj2EEi.numbered_sgpr, 14
	.set _Z10computeDFTPKfP15HIP_vector_typeIfLj2EEi.num_named_barrier, 0
	.set _Z10computeDFTPKfP15HIP_vector_typeIfLj2EEi.private_seg_size, 0
	.set _Z10computeDFTPKfP15HIP_vector_typeIfLj2EEi.uses_vcc, 1
	.set _Z10computeDFTPKfP15HIP_vector_typeIfLj2EEi.uses_flat_scratch, 0
	.set _Z10computeDFTPKfP15HIP_vector_typeIfLj2EEi.has_dyn_sized_stack, 0
	.set _Z10computeDFTPKfP15HIP_vector_typeIfLj2EEi.has_recursion, 0
	.set _Z10computeDFTPKfP15HIP_vector_typeIfLj2EEi.has_indirect_call, 0
	.section	.AMDGPU.csdata,"",@progbits
; Kernel info:
; codeLenInByte = 2312
; TotalNumSgprs: 16
; NumVgprs: 30
; ScratchSize: 0
; MemoryBound: 0
; FloatMode: 240
; IeeeMode: 1
; LDSByteSize: 0 bytes/workgroup (compile time only)
; SGPRBlocks: 0
; VGPRBlocks: 1
; NumSGPRsForWavesPerEU: 16
; NumVGPRsForWavesPerEU: 30
; NamedBarCnt: 0
; Occupancy: 16
; WaveLimiterHint : 0
; COMPUTE_PGM_RSRC2:SCRATCH_EN: 0
; COMPUTE_PGM_RSRC2:USER_SGPR: 2
; COMPUTE_PGM_RSRC2:TRAP_HANDLER: 0
; COMPUTE_PGM_RSRC2:TGID_X_EN: 1
; COMPUTE_PGM_RSRC2:TGID_Y_EN: 0
; COMPUTE_PGM_RSRC2:TGID_Z_EN: 0
; COMPUTE_PGM_RSRC2:TIDIG_COMP_CNT: 0
	.text
	.p2alignl 7, 3214868480
	.fill 96, 4, 3214868480
	.section	.AMDGPU.gpr_maximums,"",@progbits
	.set amdgpu.max_num_vgpr, 0
	.set amdgpu.max_num_agpr, 0
	.set amdgpu.max_num_sgpr, 0
	.text
	.type	__hip_cuid_a1c24bfc4502e5b1,@object ; @__hip_cuid_a1c24bfc4502e5b1
	.section	.bss,"aw",@nobits
	.globl	__hip_cuid_a1c24bfc4502e5b1
__hip_cuid_a1c24bfc4502e5b1:
	.byte	0                               ; 0x0
	.size	__hip_cuid_a1c24bfc4502e5b1, 1

	.ident	"AMD clang version 22.0.0git (https://github.com/RadeonOpenCompute/llvm-project roc-7.2.4 26084 f58b06dce1f9c15707c5f808fd002e18c2accf7e)"
	.section	".note.GNU-stack","",@progbits
	.addrsig
	.addrsig_sym __hip_cuid_a1c24bfc4502e5b1
	.amdgpu_metadata
---
amdhsa.kernels:
  - .args:
      - .address_space:  global
        .offset:         0
        .size:           8
        .value_kind:     global_buffer
      - .address_space:  global
        .offset:         8
        .size:           8
        .value_kind:     global_buffer
      - .offset:         16
        .size:           4
        .value_kind:     by_value
      - .offset:         24
        .size:           4
        .value_kind:     hidden_block_count_x
      - .offset:         28
        .size:           4
        .value_kind:     hidden_block_count_y
      - .offset:         32
        .size:           4
        .value_kind:     hidden_block_count_z
      - .offset:         36
        .size:           2
        .value_kind:     hidden_group_size_x
      - .offset:         38
        .size:           2
        .value_kind:     hidden_group_size_y
      - .offset:         40
        .size:           2
        .value_kind:     hidden_group_size_z
      - .offset:         42
        .size:           2
        .value_kind:     hidden_remainder_x
      - .offset:         44
        .size:           2
        .value_kind:     hidden_remainder_y
      - .offset:         46
        .size:           2
        .value_kind:     hidden_remainder_z
      - .offset:         64
        .size:           8
        .value_kind:     hidden_global_offset_x
      - .offset:         72
        .size:           8
        .value_kind:     hidden_global_offset_y
      - .offset:         80
        .size:           8
        .value_kind:     hidden_global_offset_z
      - .offset:         88
        .size:           2
        .value_kind:     hidden_grid_dims
    .group_segment_fixed_size: 0
    .kernarg_segment_align: 8
    .kernarg_segment_size: 280
    .language:       OpenCL C
    .language_version:
      - 2
      - 0
    .max_flat_workgroup_size: 1024
    .name:           _Z10computeDFTPKfP15HIP_vector_typeIfLj2EEi
    .private_segment_fixed_size: 0
    .sgpr_count:     16
    .sgpr_spill_count: 0
    .symbol:         _Z10computeDFTPKfP15HIP_vector_typeIfLj2EEi.kd
    .uniform_work_group_size: 1
    .uses_dynamic_stack: false
    .vgpr_count:     30
    .vgpr_spill_count: 0
    .wavefront_size: 32
amdhsa.target:   amdgcn-amd-amdhsa--gfx1250
amdhsa.version:
  - 1
  - 2
...

	.end_amdgpu_metadata
